;; amdgpu-corpus repo=ROCm/rocFFT kind=compiled arch=gfx1201 opt=O3
	.text
	.amdgcn_target "amdgcn-amd-amdhsa--gfx1201"
	.amdhsa_code_object_version 6
	.protected	fft_rtc_fwd_len208_factors_13_16_wgs_64_tpt_16_halfLds_dp_ip_CI_unitstride_sbrr_dirReg ; -- Begin function fft_rtc_fwd_len208_factors_13_16_wgs_64_tpt_16_halfLds_dp_ip_CI_unitstride_sbrr_dirReg
	.globl	fft_rtc_fwd_len208_factors_13_16_wgs_64_tpt_16_halfLds_dp_ip_CI_unitstride_sbrr_dirReg
	.p2align	8
	.type	fft_rtc_fwd_len208_factors_13_16_wgs_64_tpt_16_halfLds_dp_ip_CI_unitstride_sbrr_dirReg,@function
fft_rtc_fwd_len208_factors_13_16_wgs_64_tpt_16_halfLds_dp_ip_CI_unitstride_sbrr_dirReg: ; @fft_rtc_fwd_len208_factors_13_16_wgs_64_tpt_16_halfLds_dp_ip_CI_unitstride_sbrr_dirReg
; %bb.0:
	s_clause 0x2
	s_load_b128 s[4:7], s[0:1], 0x0
	s_load_b64 s[8:9], s[0:1], 0x50
	s_load_b64 s[10:11], s[0:1], 0x18
	v_lshrrev_b32_e32 v56, 4, v0
	v_mov_b32_e32 v3, 0
	v_mov_b32_e32 v1, 0
	;; [unrolled: 1-line block ×3, first 2 shown]
	s_delay_alu instid0(VALU_DEP_4) | instskip(NEXT) | instid1(VALU_DEP_4)
	v_lshl_or_b32 v5, ttmp9, 2, v56
	v_mov_b32_e32 v6, v3
	s_wait_kmcnt 0x0
	v_cmp_lt_u64_e64 s2, s[6:7], 2
	s_delay_alu instid0(VALU_DEP_1)
	s_and_b32 vcc_lo, exec_lo, s2
	s_cbranch_vccnz .LBB0_8
; %bb.1:
	s_load_b64 s[2:3], s[0:1], 0x10
	v_mov_b32_e32 v1, 0
	v_mov_b32_e32 v2, 0
	s_add_nc_u64 s[12:13], s[10:11], 8
	s_mov_b64 s[14:15], 1
	s_wait_kmcnt 0x0
	s_add_nc_u64 s[16:17], s[2:3], 8
	s_mov_b32 s3, 0
.LBB0_2:                                ; =>This Inner Loop Header: Depth=1
	s_load_b64 s[18:19], s[16:17], 0x0
                                        ; implicit-def: $vgpr7_vgpr8
	s_mov_b32 s2, exec_lo
	s_wait_kmcnt 0x0
	v_or_b32_e32 v4, s19, v6
	s_delay_alu instid0(VALU_DEP_1)
	v_cmpx_ne_u64_e32 0, v[3:4]
	s_wait_alu 0xfffe
	s_xor_b32 s20, exec_lo, s2
	s_cbranch_execz .LBB0_4
; %bb.3:                                ;   in Loop: Header=BB0_2 Depth=1
	s_cvt_f32_u32 s2, s18
	s_cvt_f32_u32 s21, s19
	s_sub_nc_u64 s[24:25], 0, s[18:19]
	s_wait_alu 0xfffe
	s_delay_alu instid0(SALU_CYCLE_1) | instskip(SKIP_1) | instid1(SALU_CYCLE_2)
	s_fmamk_f32 s2, s21, 0x4f800000, s2
	s_wait_alu 0xfffe
	v_s_rcp_f32 s2, s2
	s_delay_alu instid0(TRANS32_DEP_1) | instskip(SKIP_1) | instid1(SALU_CYCLE_2)
	s_mul_f32 s2, s2, 0x5f7ffffc
	s_wait_alu 0xfffe
	s_mul_f32 s21, s2, 0x2f800000
	s_wait_alu 0xfffe
	s_delay_alu instid0(SALU_CYCLE_2) | instskip(SKIP_1) | instid1(SALU_CYCLE_2)
	s_trunc_f32 s21, s21
	s_wait_alu 0xfffe
	s_fmamk_f32 s2, s21, 0xcf800000, s2
	s_cvt_u32_f32 s23, s21
	s_wait_alu 0xfffe
	s_delay_alu instid0(SALU_CYCLE_1) | instskip(SKIP_1) | instid1(SALU_CYCLE_2)
	s_cvt_u32_f32 s22, s2
	s_wait_alu 0xfffe
	s_mul_u64 s[26:27], s[24:25], s[22:23]
	s_wait_alu 0xfffe
	s_mul_hi_u32 s29, s22, s27
	s_mul_i32 s28, s22, s27
	s_mul_hi_u32 s2, s22, s26
	s_mul_i32 s30, s23, s26
	s_wait_alu 0xfffe
	s_add_nc_u64 s[28:29], s[2:3], s[28:29]
	s_mul_hi_u32 s21, s23, s26
	s_mul_hi_u32 s31, s23, s27
	s_add_co_u32 s2, s28, s30
	s_wait_alu 0xfffe
	s_add_co_ci_u32 s2, s29, s21
	s_mul_i32 s26, s23, s27
	s_add_co_ci_u32 s27, s31, 0
	s_wait_alu 0xfffe
	s_add_nc_u64 s[26:27], s[2:3], s[26:27]
	s_wait_alu 0xfffe
	v_add_co_u32 v4, s2, s22, s26
	s_delay_alu instid0(VALU_DEP_1) | instskip(SKIP_1) | instid1(VALU_DEP_1)
	s_cmp_lg_u32 s2, 0
	s_add_co_ci_u32 s23, s23, s27
	v_readfirstlane_b32 s22, v4
	s_wait_alu 0xfffe
	s_delay_alu instid0(VALU_DEP_1)
	s_mul_u64 s[24:25], s[24:25], s[22:23]
	s_wait_alu 0xfffe
	s_mul_hi_u32 s27, s22, s25
	s_mul_i32 s26, s22, s25
	s_mul_hi_u32 s2, s22, s24
	s_mul_i32 s28, s23, s24
	s_wait_alu 0xfffe
	s_add_nc_u64 s[26:27], s[2:3], s[26:27]
	s_mul_hi_u32 s21, s23, s24
	s_mul_hi_u32 s22, s23, s25
	s_wait_alu 0xfffe
	s_add_co_u32 s2, s26, s28
	s_add_co_ci_u32 s2, s27, s21
	s_mul_i32 s24, s23, s25
	s_add_co_ci_u32 s25, s22, 0
	s_wait_alu 0xfffe
	s_add_nc_u64 s[24:25], s[2:3], s[24:25]
	s_wait_alu 0xfffe
	v_add_co_u32 v4, s2, v4, s24
	s_delay_alu instid0(VALU_DEP_1) | instskip(SKIP_1) | instid1(VALU_DEP_1)
	s_cmp_lg_u32 s2, 0
	s_add_co_ci_u32 s2, s23, s25
	v_mul_hi_u32 v13, v5, v4
	s_wait_alu 0xfffe
	v_mad_co_u64_u32 v[7:8], null, v5, s2, 0
	v_mad_co_u64_u32 v[9:10], null, v6, v4, 0
	;; [unrolled: 1-line block ×3, first 2 shown]
	s_delay_alu instid0(VALU_DEP_3) | instskip(SKIP_1) | instid1(VALU_DEP_4)
	v_add_co_u32 v4, vcc_lo, v13, v7
	s_wait_alu 0xfffd
	v_add_co_ci_u32_e32 v7, vcc_lo, 0, v8, vcc_lo
	s_delay_alu instid0(VALU_DEP_2) | instskip(SKIP_1) | instid1(VALU_DEP_2)
	v_add_co_u32 v4, vcc_lo, v4, v9
	s_wait_alu 0xfffd
	v_add_co_ci_u32_e32 v4, vcc_lo, v7, v10, vcc_lo
	s_wait_alu 0xfffd
	v_add_co_ci_u32_e32 v7, vcc_lo, 0, v12, vcc_lo
	s_delay_alu instid0(VALU_DEP_2) | instskip(SKIP_1) | instid1(VALU_DEP_2)
	v_add_co_u32 v4, vcc_lo, v4, v11
	s_wait_alu 0xfffd
	v_add_co_ci_u32_e32 v9, vcc_lo, 0, v7, vcc_lo
	s_delay_alu instid0(VALU_DEP_2) | instskip(SKIP_1) | instid1(VALU_DEP_3)
	v_mul_lo_u32 v10, s19, v4
	v_mad_co_u64_u32 v[7:8], null, s18, v4, 0
	v_mul_lo_u32 v11, s18, v9
	s_delay_alu instid0(VALU_DEP_2) | instskip(NEXT) | instid1(VALU_DEP_2)
	v_sub_co_u32 v7, vcc_lo, v5, v7
	v_add3_u32 v8, v8, v11, v10
	s_delay_alu instid0(VALU_DEP_1) | instskip(SKIP_1) | instid1(VALU_DEP_1)
	v_sub_nc_u32_e32 v10, v6, v8
	s_wait_alu 0xfffd
	v_subrev_co_ci_u32_e64 v10, s2, s19, v10, vcc_lo
	v_add_co_u32 v11, s2, v4, 2
	s_wait_alu 0xf1ff
	v_add_co_ci_u32_e64 v12, s2, 0, v9, s2
	v_sub_co_u32 v13, s2, v7, s18
	v_sub_co_ci_u32_e32 v8, vcc_lo, v6, v8, vcc_lo
	s_wait_alu 0xf1ff
	v_subrev_co_ci_u32_e64 v10, s2, 0, v10, s2
	s_delay_alu instid0(VALU_DEP_3) | instskip(NEXT) | instid1(VALU_DEP_3)
	v_cmp_le_u32_e32 vcc_lo, s18, v13
	v_cmp_eq_u32_e64 s2, s19, v8
	s_wait_alu 0xfffd
	v_cndmask_b32_e64 v13, 0, -1, vcc_lo
	v_cmp_le_u32_e32 vcc_lo, s19, v10
	s_wait_alu 0xfffd
	v_cndmask_b32_e64 v14, 0, -1, vcc_lo
	v_cmp_le_u32_e32 vcc_lo, s18, v7
	;; [unrolled: 3-line block ×3, first 2 shown]
	s_wait_alu 0xfffd
	v_cndmask_b32_e64 v15, 0, -1, vcc_lo
	v_cmp_eq_u32_e32 vcc_lo, s19, v10
	s_wait_alu 0xf1ff
	s_delay_alu instid0(VALU_DEP_2)
	v_cndmask_b32_e64 v7, v15, v7, s2
	s_wait_alu 0xfffd
	v_cndmask_b32_e32 v10, v14, v13, vcc_lo
	v_add_co_u32 v13, vcc_lo, v4, 1
	s_wait_alu 0xfffd
	v_add_co_ci_u32_e32 v14, vcc_lo, 0, v9, vcc_lo
	s_delay_alu instid0(VALU_DEP_3) | instskip(SKIP_2) | instid1(VALU_DEP_3)
	v_cmp_ne_u32_e32 vcc_lo, 0, v10
	s_wait_alu 0xfffd
	v_cndmask_b32_e32 v10, v13, v11, vcc_lo
	v_cndmask_b32_e32 v8, v14, v12, vcc_lo
	v_cmp_ne_u32_e32 vcc_lo, 0, v7
	s_wait_alu 0xfffd
	s_delay_alu instid0(VALU_DEP_2)
	v_dual_cndmask_b32 v7, v4, v10 :: v_dual_cndmask_b32 v8, v9, v8
.LBB0_4:                                ;   in Loop: Header=BB0_2 Depth=1
	s_wait_alu 0xfffe
	s_and_not1_saveexec_b32 s2, s20
	s_cbranch_execz .LBB0_6
; %bb.5:                                ;   in Loop: Header=BB0_2 Depth=1
	v_cvt_f32_u32_e32 v4, s18
	s_sub_co_i32 s20, 0, s18
	s_delay_alu instid0(VALU_DEP_1) | instskip(NEXT) | instid1(TRANS32_DEP_1)
	v_rcp_iflag_f32_e32 v4, v4
	v_mul_f32_e32 v4, 0x4f7ffffe, v4
	s_delay_alu instid0(VALU_DEP_1) | instskip(SKIP_1) | instid1(VALU_DEP_1)
	v_cvt_u32_f32_e32 v4, v4
	s_wait_alu 0xfffe
	v_mul_lo_u32 v7, s20, v4
	s_delay_alu instid0(VALU_DEP_1) | instskip(NEXT) | instid1(VALU_DEP_1)
	v_mul_hi_u32 v7, v4, v7
	v_add_nc_u32_e32 v4, v4, v7
	s_delay_alu instid0(VALU_DEP_1) | instskip(NEXT) | instid1(VALU_DEP_1)
	v_mul_hi_u32 v4, v5, v4
	v_mul_lo_u32 v7, v4, s18
	v_add_nc_u32_e32 v8, 1, v4
	s_delay_alu instid0(VALU_DEP_2) | instskip(NEXT) | instid1(VALU_DEP_1)
	v_sub_nc_u32_e32 v7, v5, v7
	v_subrev_nc_u32_e32 v9, s18, v7
	v_cmp_le_u32_e32 vcc_lo, s18, v7
	s_wait_alu 0xfffd
	s_delay_alu instid0(VALU_DEP_2) | instskip(NEXT) | instid1(VALU_DEP_1)
	v_dual_cndmask_b32 v7, v7, v9 :: v_dual_cndmask_b32 v4, v4, v8
	v_cmp_le_u32_e32 vcc_lo, s18, v7
	s_delay_alu instid0(VALU_DEP_2) | instskip(SKIP_1) | instid1(VALU_DEP_1)
	v_add_nc_u32_e32 v8, 1, v4
	s_wait_alu 0xfffd
	v_dual_cndmask_b32 v7, v4, v8 :: v_dual_mov_b32 v8, v3
.LBB0_6:                                ;   in Loop: Header=BB0_2 Depth=1
	s_wait_alu 0xfffe
	s_or_b32 exec_lo, exec_lo, s2
	s_load_b64 s[20:21], s[12:13], 0x0
	s_delay_alu instid0(VALU_DEP_1)
	v_mul_lo_u32 v4, v8, s18
	v_mul_lo_u32 v11, v7, s19
	v_mad_co_u64_u32 v[9:10], null, v7, s18, 0
	s_add_nc_u64 s[14:15], s[14:15], 1
	s_add_nc_u64 s[12:13], s[12:13], 8
	s_wait_alu 0xfffe
	v_cmp_ge_u64_e64 s2, s[14:15], s[6:7]
	s_add_nc_u64 s[16:17], s[16:17], 8
	s_delay_alu instid0(VALU_DEP_2) | instskip(NEXT) | instid1(VALU_DEP_3)
	v_add3_u32 v4, v10, v11, v4
	v_sub_co_u32 v5, vcc_lo, v5, v9
	s_wait_alu 0xfffd
	s_delay_alu instid0(VALU_DEP_2) | instskip(SKIP_3) | instid1(VALU_DEP_2)
	v_sub_co_ci_u32_e32 v4, vcc_lo, v6, v4, vcc_lo
	s_and_b32 vcc_lo, exec_lo, s2
	s_wait_kmcnt 0x0
	v_mul_lo_u32 v6, s21, v5
	v_mul_lo_u32 v4, s20, v4
	v_mad_co_u64_u32 v[1:2], null, s20, v5, v[1:2]
	s_delay_alu instid0(VALU_DEP_1)
	v_add3_u32 v2, v6, v2, v4
	s_wait_alu 0xfffe
	s_cbranch_vccnz .LBB0_9
; %bb.7:                                ;   in Loop: Header=BB0_2 Depth=1
	v_dual_mov_b32 v5, v7 :: v_dual_mov_b32 v6, v8
	s_branch .LBB0_2
.LBB0_8:
	v_dual_mov_b32 v8, v6 :: v_dual_mov_b32 v7, v5
.LBB0_9:
	s_lshl_b64 s[2:3], s[6:7], 3
	v_and_b32_e32 v85, 15, v0
	s_wait_alu 0xfffe
	s_add_nc_u64 s[2:3], s[10:11], s[2:3]
                                        ; implicit-def: $vgpr50_vgpr51
                                        ; implicit-def: $vgpr46_vgpr47
                                        ; implicit-def: $vgpr42_vgpr43
                                        ; implicit-def: $vgpr38_vgpr39
                                        ; implicit-def: $vgpr26_vgpr27
                                        ; implicit-def: $vgpr14_vgpr15
                                        ; implicit-def: $vgpr34_vgpr35
                                        ; implicit-def: $vgpr10_vgpr11
                                        ; implicit-def: $vgpr22_vgpr23
                                        ; implicit-def: $vgpr18_vgpr19
                                        ; implicit-def: $vgpr30_vgpr31
	s_load_b64 s[2:3], s[2:3], 0x0
	s_load_b64 s[0:1], s[0:1], 0x20
	v_lshlrev_b32_e32 v84, 4, v85
	s_wait_kmcnt 0x0
	v_mul_lo_u32 v3, s2, v8
	v_mul_lo_u32 v4, s3, v7
	v_mad_co_u64_u32 v[1:2], null, s2, v7, v[1:2]
	v_cmp_gt_u64_e32 vcc_lo, s[0:1], v[7:8]
                                        ; implicit-def: $vgpr6_vgpr7
	s_delay_alu instid0(VALU_DEP_2) | instskip(NEXT) | instid1(VALU_DEP_1)
	v_add3_u32 v2, v4, v2, v3
	v_lshlrev_b64_e32 v[60:61], 4, v[1:2]
                                        ; implicit-def: $vgpr2_vgpr3
	s_and_saveexec_b32 s1, vcc_lo
; %bb.10:
	s_delay_alu instid0(VALU_DEP_1) | instskip(SKIP_1) | instid1(VALU_DEP_2)
	v_add_co_u32 v0, s0, s8, v60
	s_wait_alu 0xf1ff
	v_add_co_ci_u32_e64 v1, s0, s9, v61, s0
	s_delay_alu instid0(VALU_DEP_2) | instskip(SKIP_1) | instid1(VALU_DEP_2)
	v_add_co_u32 v0, s0, v0, v84
	s_wait_alu 0xf1ff
	v_add_co_ci_u32_e64 v1, s0, 0, v1, s0
	s_clause 0xc
	global_load_b128 v[28:31], v[0:1], off
	global_load_b128 v[48:51], v[0:1], off offset:256
	global_load_b128 v[44:47], v[0:1], off offset:512
	;; [unrolled: 1-line block ×12, first 2 shown]
; %bb.11:
	s_wait_alu 0xfffe
	s_or_b32 exec_lo, exec_lo, s1
	s_wait_loadcnt 0xb
	v_add_f64_e32 v[52:53], v[48:49], v[28:29]
	s_wait_loadcnt 0x0
	v_add_f64_e32 v[54:55], v[48:49], v[0:1]
	s_mov_b32 s12, 0xe00740e9
	s_mov_b32 s6, 0x1ea71119
	;; [unrolled: 1-line block ×12, first 2 shown]
	v_add_f64_e64 v[57:58], v[50:51], -v[2:3]
	v_add_f64_e32 v[62:63], v[44:45], v[4:5]
	s_mov_b32 s24, 0x4267c47c
	s_mov_b32 s22, 0x42a4c3d2
	;; [unrolled: 1-line block ×18, first 2 shown]
	s_wait_alu 0xfffe
	s_mov_b32 s42, s24
	s_mov_b32 s30, s22
	;; [unrolled: 1-line block ×4, first 2 shown]
	v_add_f64_e32 v[52:53], v[44:45], v[52:53]
	v_mul_f64_e32 v[64:65], s[12:13], v[54:55]
	v_mul_f64_e32 v[66:67], s[6:7], v[54:55]
	;; [unrolled: 1-line block ×6, first 2 shown]
	s_mov_b32 s26, s38
	s_mov_b32 s28, s34
	v_add_f64_e32 v[74:75], v[40:41], v[8:9]
	v_add_f64_e64 v[76:77], v[46:47], -v[6:7]
	v_add_f64_e32 v[102:103], v[36:37], v[20:21]
	v_mul_u32_u24_e32 v56, 0xd0, v56
	v_cmp_gt_u32_e64 s0, 13, v85
	v_mul_f64_e32 v[78:79], s[6:7], v[62:63]
	v_mul_f64_e32 v[80:81], s[10:11], v[62:63]
	v_mul_f64_e32 v[82:83], s[16:17], v[62:63]
	v_mul_f64_e32 v[86:87], s[14:15], v[62:63]
	v_mul_f64_e32 v[88:89], s[2:3], v[62:63]
	v_mul_f64_e32 v[62:63], s[12:13], v[62:63]
	v_add_f64_e32 v[52:53], v[40:41], v[52:53]
	v_fma_f64 v[90:91], v[57:58], s[24:25], v[64:65]
	v_fma_f64 v[92:93], v[57:58], s[30:31], v[66:67]
	;; [unrolled: 1-line block ×3, first 2 shown]
	s_wait_alu 0xfffe
	v_fma_f64 v[68:69], v[57:58], s[20:21], v[68:69]
	v_fma_f64 v[96:97], v[57:58], s[38:39], v[70:71]
	;; [unrolled: 1-line block ×9, first 2 shown]
	v_add_f64_e64 v[57:58], v[42:43], -v[10:11]
	v_mul_f64_e32 v[104:105], s[2:3], v[74:75]
	v_mul_f64_e32 v[106:107], s[16:17], v[74:75]
	v_mul_f64_e32 v[108:109], s[10:11], v[74:75]
	v_mul_f64_e32 v[110:111], s[12:13], v[74:75]
	v_mul_f64_e32 v[112:113], s[6:7], v[74:75]
	v_mul_f64_e32 v[74:75], s[14:15], v[74:75]
	v_fma_f64 v[114:115], v[76:77], s[22:23], v[78:79]
	v_fma_f64 v[78:79], v[76:77], s[30:31], v[78:79]
	;; [unrolled: 1-line block ×12, first 2 shown]
	v_mul_f64_e32 v[126:127], s[10:11], v[102:103]
	v_mul_f64_e32 v[128:129], s[14:15], v[102:103]
	;; [unrolled: 1-line block ×6, first 2 shown]
	v_add_f64_e32 v[52:53], v[36:37], v[52:53]
	v_add_f64_e32 v[76:77], v[90:91], v[28:29]
	;; [unrolled: 1-line block ×13, first 2 shown]
	v_add_f64_e64 v[54:55], v[38:39], -v[22:23]
	v_add_f64_e32 v[100:101], v[24:25], v[32:33]
	v_fma_f64 v[136:137], v[57:58], s[18:19], v[104:105]
	v_fma_f64 v[104:105], v[57:58], s[36:37], v[104:105]
	;; [unrolled: 1-line block ×12, first 2 shown]
	v_add_f64_e32 v[52:53], v[24:25], v[52:53]
	v_add_f64_e32 v[74:75], v[114:115], v[76:77]
	;; [unrolled: 1-line block ×13, first 2 shown]
	v_add_f64_e64 v[78:79], v[26:27], -v[34:35]
	v_add_f64_e32 v[82:83], v[12:13], v[16:17]
	v_mul_f64_e32 v[88:89], s[14:15], v[100:101]
	v_mul_f64_e32 v[92:93], s[2:3], v[100:101]
	;; [unrolled: 1-line block ×6, first 2 shown]
	v_fma_f64 v[114:115], v[54:55], s[40:41], v[126:127]
	v_fma_f64 v[116:117], v[54:55], s[20:21], v[126:127]
	;; [unrolled: 1-line block ×12, first 2 shown]
	v_add_f64_e32 v[52:53], v[16:17], v[52:53]
	v_add_f64_e32 v[74:75], v[136:137], v[74:75]
	;; [unrolled: 1-line block ×13, first 2 shown]
	v_add_f64_e64 v[72:73], v[18:19], -v[14:15]
	v_mul_f64_e32 v[102:103], s[16:17], v[82:83]
	v_mul_f64_e32 v[104:105], s[12:13], v[82:83]
	;; [unrolled: 1-line block ×6, first 2 shown]
	v_fma_f64 v[112:113], v[78:79], s[38:39], v[88:89]
	v_fma_f64 v[88:89], v[78:79], s[26:27], v[88:89]
	;; [unrolled: 1-line block ×12, first 2 shown]
	v_add_f64_e32 v[52:53], v[12:13], v[52:53]
	v_add_f64_e32 v[74:75], v[114:115], v[74:75]
	;; [unrolled: 1-line block ×13, first 2 shown]
	v_fma_f64 v[70:71], v[72:73], s[34:35], v[102:103]
	v_fma_f64 v[100:101], v[72:73], s[28:29], v[102:103]
	;; [unrolled: 1-line block ×12, first 2 shown]
	v_add_f64_e32 v[52:53], v[32:33], v[52:53]
	v_add_f64_e32 v[74:75], v[112:113], v[74:75]
	;; [unrolled: 1-line block ×18, first 2 shown]
                                        ; implicit-def: $vgpr80_vgpr81
	v_add_f64_e32 v[54:55], v[100:101], v[64:65]
	v_add_f64_e32 v[68:69], v[72:73], v[78:79]
	;; [unrolled: 1-line block ×6, first 2 shown]
	v_mad_u32_u24 v58, 0x68, v85, 0
	s_delay_alu instid0(VALU_DEP_1) | instskip(SKIP_1) | instid1(VALU_DEP_1)
	v_lshl_add_u32 v88, v56, 3, v58
	v_add_f64_e32 v[52:53], v[8:9], v[52:53]
	v_add_f64_e32 v[92:93], v[4:5], v[52:53]
	;; [unrolled: 1-line block ×4, first 2 shown]
	v_lshlrev_b32_e32 v86, 3, v85
	v_lshlrev_b32_e32 v87, 3, v56
                                        ; implicit-def: $vgpr56_vgpr57
	v_add_f64_e32 v[28:29], v[0:1], v[92:93]
	ds_store_2addr_b64 v88, v[70:71], v[62:63] offset0:4 offset1:5
	ds_store_2addr_b64 v88, v[76:77], v[68:69] offset0:6 offset1:7
	;; [unrolled: 1-line block ×4, first 2 shown]
	ds_store_b64 v88, v[54:55] offset:96
	ds_store_2addr_b64 v88, v[28:29], v[66:67] offset1:1
	ds_store_2addr_b64 v88, v[82:83], v[72:73] offset0:2 offset1:3
	global_wb scope:SCOPE_SE
	s_wait_dscnt 0x0
	s_barrier_signal -1
	s_barrier_wait -1
	global_inv scope:SCOPE_SE
	s_and_saveexec_b32 s1, s0
	s_cbranch_execz .LBB0_13
; %bb.12:
	v_mul_i32_i24_e32 v28, 0xffffffa0, v85
	s_delay_alu instid0(VALU_DEP_1)
	v_add3_u32 v66, v58, v28, v87
	v_add3_u32 v28, 0, v87, v86
	ds_load_2addr_b64 v[62:65], v66 offset0:13 offset1:26
	ds_load_2addr_b64 v[68:71], v66 offset0:39 offset1:52
	;; [unrolled: 1-line block ×7, first 2 shown]
	ds_load_b64 v[28:29], v28
	ds_load_b64 v[80:81], v66 offset:1560
	s_wait_dscnt 0x8
	v_dual_mov_b32 v67, v63 :: v_dual_mov_b32 v66, v62
	v_dual_mov_b32 v83, v65 :: v_dual_mov_b32 v82, v64
	s_wait_dscnt 0x7
	v_dual_mov_b32 v73, v69 :: v_dual_mov_b32 v72, v68
	s_wait_dscnt 0x6
	;; [unrolled: 2-line block ×3, first 2 shown]
	v_dual_mov_b32 v68, v89 :: v_dual_mov_b32 v69, v90
	v_dual_mov_b32 v64, v91 :: v_dual_mov_b32 v65, v92
	s_wait_dscnt 0x4
	v_dual_mov_b32 v78, v95 :: v_dual_mov_b32 v79, v96
	v_dual_mov_b32 v74, v93 :: v_dual_mov_b32 v75, v94
.LBB0_13:
	s_wait_alu 0xfffe
	s_or_b32 exec_lo, exec_lo, s1
	v_add_f64_e32 v[89:90], v[50:51], v[30:31]
	v_add_f64_e64 v[0:1], v[48:49], -v[0:1]
	v_add_f64_e64 v[4:5], v[44:45], -v[4:5]
	v_add_f64_e32 v[44:45], v[50:51], v[2:3]
	v_add_f64_e64 v[8:9], v[40:41], -v[8:9]
	v_add_f64_e32 v[40:41], v[46:47], v[6:7]
	v_add_f64_e64 v[20:21], v[36:37], -v[20:21]
	v_add_f64_e64 v[24:25], v[24:25], -v[32:33]
	;; [unrolled: 1-line block ×3, first 2 shown]
	global_wb scope:SCOPE_SE
	s_wait_dscnt 0x0
	s_barrier_signal -1
	s_barrier_wait -1
	global_inv scope:SCOPE_SE
	v_add_f64_e32 v[89:90], v[46:47], v[89:90]
	v_mul_f64_e32 v[50:51], s[42:43], v[0:1]
	v_mul_f64_e32 v[91:92], s[20:21], v[0:1]
	;; [unrolled: 1-line block ×18, first 2 shown]
	v_add_f64_e32 v[89:90], v[42:43], v[89:90]
	v_fma_f64 v[105:106], v[44:45], s[12:13], v[50:51]
	v_fma_f64 v[50:51], v[44:45], s[12:13], -v[50:51]
	v_fma_f64 v[109:110], v[44:45], s[10:11], v[91:92]
	v_fma_f64 v[91:92], v[44:45], s[10:11], -v[91:92]
	v_fma_f64 v[111:112], v[44:45], s[14:15], v[93:94]
	v_fma_f64 v[113:114], v[44:45], s[16:17], v[95:96]
	v_fma_f64 v[95:96], v[44:45], s[16:17], -v[95:96]
	v_fma_f64 v[93:94], v[44:45], s[14:15], -v[93:94]
	v_add_f64_e32 v[42:43], v[42:43], v[10:11]
	v_fma_f64 v[123:124], v[40:41], s[6:7], v[46:47]
	v_fma_f64 v[46:47], v[40:41], s[6:7], -v[46:47]
	v_fma_f64 v[125:126], v[40:41], s[10:11], v[97:98]
	v_fma_f64 v[97:98], v[40:41], s[10:11], -v[97:98]
	;; [unrolled: 2-line block ×6, first 2 shown]
	v_add_f64_e32 v[48:49], v[38:39], v[89:90]
	v_mul_f64_e32 v[89:90], s[30:31], v[0:1]
	v_mul_f64_e32 v[0:1], s[36:37], v[0:1]
	v_add_f64_e32 v[40:41], v[105:106], v[30:31]
	v_add_f64_e32 v[50:51], v[50:51], v[30:31]
	;; [unrolled: 1-line block ×6, first 2 shown]
	v_fma_f64 v[139:140], v[42:43], s[2:3], v[36:37]
	v_fma_f64 v[36:37], v[42:43], s[2:3], -v[36:37]
	v_fma_f64 v[143:144], v[42:43], s[10:11], v[117:118]
	v_fma_f64 v[117:118], v[42:43], s[10:11], -v[117:118]
	;; [unrolled: 2-line block ×4, first 2 shown]
	v_add_f64_e32 v[48:49], v[26:27], v[48:49]
	v_fma_f64 v[107:108], v[44:45], s[6:7], -v[89:90]
	v_fma_f64 v[115:116], v[44:45], s[2:3], -v[0:1]
	v_fma_f64 v[89:90], v[44:45], s[6:7], v[89:90]
	v_fma_f64 v[0:1], v[44:45], s[2:3], v[0:1]
	v_add_f64_e32 v[40:41], v[123:124], v[40:41]
	v_add_f64_e32 v[91:92], v[101:102], v[91:92]
	;; [unrolled: 1-line block ×5, first 2 shown]
	v_mul_f64_e32 v[103:104], s[34:35], v[24:25]
	v_fma_f64 v[123:124], v[38:39], s[2:3], -v[135:136]
	v_add_f64_e32 v[44:45], v[18:19], v[48:49]
	v_mul_f64_e32 v[48:49], s[28:29], v[8:9]
	v_mul_f64_e32 v[8:9], s[26:27], v[8:9]
	v_add_f64_e32 v[105:106], v[107:108], v[30:31]
	v_add_f64_e32 v[107:108], v[109:110], v[30:31]
	;; [unrolled: 1-line block ×7, first 2 shown]
	v_mul_f64_e32 v[115:116], s[24:25], v[20:21]
	v_add_f64_e32 v[30:31], v[14:15], v[44:45]
	v_mul_f64_e32 v[44:45], s[38:39], v[20:21]
	v_mul_f64_e32 v[20:21], s[22:23], v[20:21]
	v_fma_f64 v[141:142], v[42:43], s[16:17], v[48:49]
	v_fma_f64 v[48:49], v[42:43], s[16:17], -v[48:49]
	v_fma_f64 v[149:150], v[42:43], s[14:15], v[8:9]
	v_fma_f64 v[8:9], v[42:43], s[14:15], -v[8:9]
	v_add_f64_e32 v[42:43], v[46:47], v[50:51]
	v_add_f64_e32 v[46:47], v[97:98], v[105:106]
	v_add_f64_e32 v[50:51], v[129:130], v[107:108]
	v_add_f64_e32 v[97:98], v[131:132], v[109:110]
	v_add_f64_e32 v[101:102], v[133:134], v[111:112]
	v_add_f64_e32 v[95:96], v[99:100], v[113:114]
	v_add_f64_e32 v[89:90], v[125:126], v[89:90]
	v_add_f64_e32 v[0:1], v[127:128], v[0:1]
	v_mul_f64_e32 v[99:100], s[30:31], v[24:25]
	v_mul_f64_e32 v[105:106], s[24:25], v[24:25]
	v_fma_f64 v[107:108], v[38:39], s[10:11], v[32:33]
	v_fma_f64 v[32:33], v[38:39], s[10:11], -v[32:33]
	v_fma_f64 v[111:112], v[38:39], s[12:13], v[115:116]
	v_fma_f64 v[113:114], v[38:39], s[12:13], -v[115:116]
	v_fma_f64 v[115:116], v[38:39], s[2:3], v[135:136]
	v_fma_f64 v[125:126], v[38:39], s[16:17], v[137:138]
	v_fma_f64 v[127:128], v[38:39], s[16:17], -v[137:138]
	v_add_f64_e32 v[14:15], v[14:15], v[18:19]
	v_mul_f64_e32 v[18:19], s[28:29], v[12:13]
	v_add_f64_e32 v[30:31], v[34:35], v[30:31]
	v_mul_f64_e32 v[34:35], s[18:19], v[24:25]
	v_mul_f64_e32 v[24:25], s[20:21], v[24:25]
	v_fma_f64 v[109:110], v[38:39], s[14:15], v[44:45]
	v_fma_f64 v[44:45], v[38:39], s[14:15], -v[44:45]
	v_fma_f64 v[129:130], v[38:39], s[6:7], v[20:21]
	v_fma_f64 v[20:21], v[38:39], s[6:7], -v[20:21]
	v_add_f64_e32 v[38:39], v[139:140], v[40:41]
	v_add_f64_e32 v[36:37], v[36:37], v[42:43]
	;; [unrolled: 1-line block ×12, first 2 shown]
	v_mul_f64_e32 v[93:94], s[26:27], v[12:13]
	v_mul_f64_e32 v[95:96], s[22:23], v[12:13]
	;; [unrolled: 1-line block ×3, first 2 shown]
	v_fma_f64 v[101:102], v[26:27], s[14:15], v[16:17]
	v_fma_f64 v[16:17], v[26:27], s[14:15], -v[16:17]
	v_fma_f64 v[119:120], v[26:27], s[6:7], v[99:100]
	v_fma_f64 v[99:100], v[26:27], s[6:7], -v[99:100]
	;; [unrolled: 2-line block ×4, first 2 shown]
	v_add_f64_e32 v[22:23], v[22:23], v[30:31]
	v_mul_f64_e32 v[30:31], s[24:25], v[12:13]
	v_mul_f64_e32 v[12:13], s[18:19], v[12:13]
	v_fma_f64 v[117:118], v[26:27], s[2:3], v[34:35]
	v_fma_f64 v[34:35], v[26:27], s[2:3], -v[34:35]
	v_fma_f64 v[133:134], v[26:27], s[10:11], v[24:25]
	v_fma_f64 v[24:25], v[26:27], s[10:11], -v[24:25]
	v_add_f64_e32 v[26:27], v[107:108], v[38:39]
	v_add_f64_e32 v[32:33], v[32:33], v[36:37]
	;; [unrolled: 1-line block ×12, first 2 shown]
	v_fma_f64 v[50:51], v[14:15], s[14:15], v[93:94]
	v_fma_f64 v[89:90], v[14:15], s[14:15], -v[93:94]
	v_fma_f64 v[91:92], v[14:15], s[6:7], v[95:96]
	v_fma_f64 v[93:94], v[14:15], s[6:7], -v[95:96]
	;; [unrolled: 2-line block ×3, first 2 shown]
	v_add_f64_e32 v[10:11], v[10:11], v[22:23]
	v_fma_f64 v[22:23], v[14:15], s[16:17], v[18:19]
	v_fma_f64 v[18:19], v[14:15], s[16:17], -v[18:19]
	v_fma_f64 v[48:49], v[14:15], s[12:13], v[30:31]
	v_fma_f64 v[30:31], v[14:15], s[12:13], -v[30:31]
	;; [unrolled: 2-line block ×3, first 2 shown]
	v_add_f64_e32 v[12:13], v[101:102], v[26:27]
	v_add_f64_e32 v[14:15], v[16:17], v[32:33]
	;; [unrolled: 1-line block ×25, first 2 shown]
                                        ; implicit-def: $vgpr32_vgpr33
	v_add_f64_e32 v[0:1], v[2:3], v[6:7]
                                        ; implicit-def: $vgpr6_vgpr7
	ds_store_2addr_b64 v88, v[12:13], v[24:25] offset0:4 offset1:5
	ds_store_2addr_b64 v88, v[34:35], v[26:27] offset0:6 offset1:7
	;; [unrolled: 1-line block ×4, first 2 shown]
	ds_store_b64 v88, v[4:5] offset:96
	ds_store_2addr_b64 v88, v[30:31], v[18:19] offset0:2 offset1:3
	ds_store_2addr_b64 v88, v[0:1], v[16:17] offset1:1
	global_wb scope:SCOPE_SE
	s_wait_dscnt 0x0
	s_barrier_signal -1
	s_barrier_wait -1
	global_inv scope:SCOPE_SE
	s_and_saveexec_b32 s1, s0
	s_cbranch_execnz .LBB0_16
; %bb.14:
	s_wait_alu 0xfffe
	s_or_b32 exec_lo, exec_lo, s1
	s_and_b32 s0, vcc_lo, s0
	s_wait_alu 0xfffe
	s_and_saveexec_b32 s1, s0
	s_cbranch_execnz .LBB0_17
.LBB0_15:
	s_endpgm
.LBB0_16:
	v_add3_u32 v10, 0, v86, v87
	v_add3_u32 v0, 0, v87, v86
	ds_load_2addr_b64 v[12:15], v10 offset0:91 offset1:104
	ds_load_2addr_b64 v[16:19], v10 offset0:117 offset1:130
	;; [unrolled: 1-line block ×7, first 2 shown]
	ds_load_b64 v[0:1], v0
	ds_load_b64 v[32:33], v10 offset:1560
	s_wait_dscnt 0x8
	v_dual_mov_b32 v21, v15 :: v_dual_mov_b32 v20, v14
	s_wait_dscnt 0x7
	v_dual_mov_b32 v23, v19 :: v_dual_mov_b32 v22, v18
	;; [unrolled: 2-line block ×3, first 2 shown]
	v_dual_mov_b32 v14, v16 :: v_dual_mov_b32 v15, v17
	v_dual_mov_b32 v27, v13 :: v_dual_mov_b32 v26, v12
	s_wait_dscnt 0x5
	v_dual_mov_b32 v34, v38 :: v_dual_mov_b32 v35, v39
	v_dual_mov_b32 v24, v36 :: v_dual_mov_b32 v25, v37
	s_wait_dscnt 0x4
	;; [unrolled: 3-line block ×3, first 2 shown]
	v_dual_mov_b32 v30, v46 :: v_dual_mov_b32 v31, v47
	v_dual_mov_b32 v16, v44 :: v_dual_mov_b32 v17, v45
	s_wait_alu 0xfffe
	s_or_b32 exec_lo, exec_lo, s1
	s_and_b32 s0, vcc_lo, s0
	s_wait_alu 0xfffe
	s_and_saveexec_b32 s1, s0
	s_cbranch_execz .LBB0_15
.LBB0_17:
	v_mul_u32_u24_e32 v2, 15, v85
	s_mov_b32 s0, 0x667f3bcd
	s_mov_b32 s1, 0x3fe6a09e
	;; [unrolled: 1-line block ×3, first 2 shown]
	s_wait_alu 0xfffe
	s_mov_b32 s2, s0
	v_lshlrev_b32_e32 v2, 4, v2
	s_mov_b32 s6, 0xa6aea964
	s_mov_b32 s7, 0x3fd87de2
	;; [unrolled: 1-line block ×3, first 2 shown]
	s_wait_alu 0xfffe
	s_mov_b32 s10, s6
	s_clause 0xe
	global_load_b128 v[36:39], v2, s[4:5] offset:16
	global_load_b128 v[40:43], v2, s[4:5] offset:144
	;; [unrolled: 1-line block ×7, first 2 shown]
	global_load_b128 v[97:100], v2, s[4:5]
	global_load_b128 v[101:104], v2, s[4:5] offset:128
	global_load_b128 v[105:108], v2, s[4:5] offset:64
	;; [unrolled: 1-line block ×7, first 2 shown]
	s_mov_b32 s4, 0xcf328d46
	s_mov_b32 s5, 0x3fed906b
	;; [unrolled: 1-line block ×4, first 2 shown]
	v_add_co_u32 v60, vcc_lo, s8, v60
	s_wait_alu 0xfffd
	v_add_co_ci_u32_e32 v61, vcc_lo, s9, v61, vcc_lo
	s_delay_alu instid0(VALU_DEP_2) | instskip(SKIP_1) | instid1(VALU_DEP_2)
	v_add_co_u32 v60, vcc_lo, v60, v84
	s_wait_alu 0xfffd
	v_add_co_ci_u32_e32 v61, vcc_lo, 0, v61, vcc_lo
	s_wait_loadcnt 0xe
	v_mul_f64_e32 v[2:3], v[30:31], v[38:39]
	v_mul_f64_e32 v[38:39], v[82:83], v[38:39]
	s_wait_loadcnt 0xd
	v_mul_f64_e32 v[129:130], v[22:23], v[42:43]
	v_mul_f64_e32 v[42:43], v[78:79], v[42:43]
	s_wait_loadcnt 0xc
	v_mul_f64_e32 v[131:132], v[34:35], v[44:45]
	s_wait_loadcnt_dscnt 0xb02
	v_mul_f64_e32 v[133:134], v[8:9], v[48:49]
	v_mul_f64_e32 v[34:35], v[34:35], v[46:47]
	;; [unrolled: 1-line block ×3, first 2 shown]
	s_wait_loadcnt 0xa
	v_mul_f64_e32 v[135:136], v[12:13], v[87:88]
	s_wait_loadcnt 0x9
	v_mul_f64_e32 v[137:138], v[4:5], v[91:92]
	;; [unrolled: 2-line block ×9, first 2 shown]
	v_mul_f64_e32 v[6:7], v[6:7], v[111:112]
	v_mul_f64_e32 v[99:100], v[66:67], v[99:100]
	;; [unrolled: 1-line block ×5, first 2 shown]
	v_fma_f64 v[2:3], v[82:83], v[36:37], -v[2:3]
	s_wait_loadcnt 0x1
	v_mul_f64_e32 v[82:83], v[26:27], v[121:122]
	v_fma_f64 v[30:31], v[30:31], v[36:37], v[38:39]
	s_wait_loadcnt_dscnt 0x0
	v_mul_f64_e32 v[36:37], v[32:33], v[125:126]
	v_mul_f64_e32 v[38:39], v[72:73], v[115:116]
	;; [unrolled: 1-line block ×5, first 2 shown]
	v_fma_f64 v[78:79], v[78:79], v[40:41], -v[129:130]
	v_fma_f64 v[22:23], v[22:23], v[40:41], v[42:43]
	v_mul_f64_e32 v[40:41], v[70:71], v[87:88]
	v_mul_f64_e32 v[42:43], v[54:55], v[91:92]
	v_fma_f64 v[46:47], v[76:77], v[46:47], v[131:132]
	v_fma_f64 v[50:51], v[58:59], v[50:51], v[133:134]
	v_fma_f64 v[34:35], v[76:77], v[44:45], -v[34:35]
	v_fma_f64 v[8:9], v[58:59], v[48:49], -v[8:9]
	v_fma_f64 v[44:45], v[70:71], v[85:86], -v[135:136]
	v_fma_f64 v[48:49], v[54:55], v[89:90], -v[137:138]
	v_fma_f64 v[54:55], v[64:65], v[95:96], v[139:140]
	v_fma_f64 v[58:59], v[66:67], v[97:98], -v[141:142]
	v_fma_f64 v[66:67], v[74:75], v[101:102], -v[143:144]
	v_fma_f64 v[70:71], v[62:63], v[107:108], v[145:146]
	v_fma_f64 v[74:75], v[56:57], v[111:112], v[147:148]
	v_fma_f64 v[72:73], v[72:73], v[113:114], -v[149:150]
	v_fma_f64 v[52:53], v[52:53], v[117:118], -v[151:152]
	v_fma_f64 v[16:17], v[16:17], v[97:98], v[99:100]
	v_fma_f64 v[14:15], v[14:15], v[101:102], v[103:104]
	v_fma_f64 v[24:25], v[62:63], v[105:106], -v[24:25]
	v_fma_f64 v[6:7], v[56:57], v[109:110], -v[6:7]
	;; [unrolled: 1-line block ×3, first 2 shown]
	v_fma_f64 v[76:77], v[68:69], v[123:124], v[82:83]
	v_fma_f64 v[36:37], v[80:81], v[127:128], v[36:37]
	;; [unrolled: 1-line block ×4, first 2 shown]
	v_fma_f64 v[26:27], v[68:69], v[121:122], -v[26:27]
	v_fma_f64 v[32:33], v[80:81], v[125:126], -v[32:33]
	v_add_f64_e64 v[38:39], v[2:3], -v[78:79]
	v_add_f64_e64 v[22:23], v[30:31], -v[22:23]
	v_fma_f64 v[12:13], v[12:13], v[85:86], v[40:41]
	v_fma_f64 v[4:5], v[4:5], v[89:90], v[42:43]
	v_add_f64_e64 v[40:41], v[46:47], -v[50:51]
	v_add_f64_e64 v[8:9], v[34:35], -v[8:9]
	;; [unrolled: 1-line block ×13, first 2 shown]
	v_fma_f64 v[2:3], v[2:3], 2.0, -v[38:39]
	v_add_f64_e64 v[4:5], v[12:13], -v[4:5]
	v_add_f64_e64 v[56:57], v[38:39], -v[40:41]
	v_add_f64_e32 v[64:65], v[22:23], v[8:9]
	v_fma_f64 v[8:9], v[34:35], 2.0, -v[8:9]
	v_add_f64_e32 v[62:63], v[42:43], v[48:49]
	v_fma_f64 v[0:1], v[0:1], 2.0, -v[48:49]
	v_add_f64_e64 v[66:67], v[50:51], -v[54:55]
	v_fma_f64 v[34:35], v[72:73], 2.0, -v[52:53]
	v_fma_f64 v[16:17], v[16:17], 2.0, -v[14:15]
	v_add_f64_e32 v[78:79], v[14:15], v[6:7]
	v_fma_f64 v[6:7], v[24:25], 2.0, -v[6:7]
	v_fma_f64 v[24:25], v[30:31], 2.0, -v[22:23]
	;; [unrolled: 1-line block ×5, first 2 shown]
	v_add_f64_e64 v[68:69], v[52:53], -v[36:37]
	v_fma_f64 v[18:19], v[18:19], 2.0, -v[10:11]
	v_add_f64_e32 v[74:75], v[10:11], v[32:33]
	v_fma_f64 v[26:27], v[26:27], 2.0, -v[32:33]
	v_fma_f64 v[32:33], v[76:77], 2.0, -v[36:37]
	;; [unrolled: 1-line block ×3, first 2 shown]
	v_add_f64_e64 v[80:81], v[20:21], -v[4:5]
	v_fma_f64 v[4:5], v[12:13], 2.0, -v[4:5]
	v_fma_f64 v[12:13], v[58:59], 2.0, -v[50:51]
	;; [unrolled: 1-line block ×4, first 2 shown]
	v_add_f64_e64 v[8:9], v[2:3], -v[8:9]
	v_fma_f64 v[42:43], v[48:49], 2.0, -v[62:63]
	v_fma_f64 v[48:49], v[64:65], s[0:1], v[62:63]
	v_fma_f64 v[44:45], v[50:51], 2.0, -v[66:67]
	v_fma_f64 v[14:15], v[14:15], 2.0, -v[78:79]
	v_add_f64_e64 v[30:31], v[24:25], -v[30:31]
	v_add_f64_e64 v[40:41], v[28:29], -v[40:41]
	v_fma_f64 v[46:47], v[52:53], 2.0, -v[68:69]
	v_fma_f64 v[50:51], v[68:69], s[0:1], v[66:67]
	v_fma_f64 v[10:11], v[10:11], 2.0, -v[74:75]
	v_add_f64_e64 v[26:27], v[34:35], -v[26:27]
	v_fma_f64 v[52:53], v[74:75], s[0:1], v[78:79]
	v_add_f64_e64 v[32:33], v[18:19], -v[32:33]
	v_fma_f64 v[20:21], v[20:21], 2.0, -v[80:81]
	v_add_f64_e64 v[4:5], v[0:1], -v[4:5]
	v_add_f64_e64 v[6:7], v[12:13], -v[6:7]
	v_fma_f64 v[54:55], v[56:57], s[0:1], v[80:81]
	v_add_f64_e64 v[36:37], v[16:17], -v[36:37]
	v_fma_f64 v[2:3], v[2:3], 2.0, -v[8:9]
	v_fma_f64 v[58:59], v[22:23], s[2:3], v[42:43]
	v_fma_f64 v[48:49], v[56:57], s[0:1], v[48:49]
	v_fma_f64 v[24:25], v[24:25], 2.0, -v[30:31]
	v_fma_f64 v[28:29], v[28:29], 2.0, -v[40:41]
	v_fma_f64 v[70:71], v[46:47], s[2:3], v[44:45]
	v_fma_f64 v[50:51], v[74:75], s[2:3], v[50:51]
	;; [unrolled: 1-line block ×3, first 2 shown]
	v_fma_f64 v[34:35], v[34:35], 2.0, -v[26:27]
	v_fma_f64 v[52:53], v[68:69], s[0:1], v[52:53]
	v_add_f64_e64 v[68:69], v[40:41], -v[30:31]
	v_fma_f64 v[76:77], v[38:39], s[2:3], v[20:21]
	v_fma_f64 v[0:1], v[0:1], 2.0, -v[4:5]
	v_fma_f64 v[12:13], v[12:13], 2.0, -v[6:7]
	v_fma_f64 v[54:55], v[64:65], s[2:3], v[54:55]
	v_add_f64_e32 v[56:57], v[8:9], v[4:5]
	v_add_f64_e64 v[64:65], v[6:7], -v[32:33]
	v_add_f64_e32 v[26:27], v[36:37], v[26:27]
	v_fma_f64 v[8:9], v[16:17], 2.0, -v[36:37]
	v_fma_f64 v[16:17], v[18:19], 2.0, -v[32:33]
	v_fma_f64 v[58:59], v[38:39], s[0:1], v[58:59]
	v_fma_f64 v[62:63], v[62:63], 2.0, -v[48:49]
	v_fma_f64 v[30:31], v[10:11], s[2:3], v[70:71]
	v_fma_f64 v[18:19], v[66:67], 2.0, -v[50:51]
	v_fma_f64 v[32:33], v[46:47], s[0:1], v[72:73]
	v_fma_f64 v[72:73], v[40:41], 2.0, -v[68:69]
	v_fma_f64 v[70:71], v[22:23], s[2:3], v[76:77]
	v_add_f64_e64 v[46:47], v[0:1], -v[24:25]
	v_add_f64_e64 v[10:11], v[12:13], -v[34:35]
	v_fma_f64 v[22:23], v[78:79], 2.0, -v[52:53]
	v_fma_f64 v[66:67], v[4:5], 2.0, -v[56:57]
	;; [unrolled: 1-line block ×5, first 2 shown]
	v_add_f64_e64 v[40:41], v[28:29], -v[2:3]
	v_add_f64_e64 v[16:17], v[8:9], -v[16:17]
	v_fma_f64 v[76:77], v[42:43], 2.0, -v[58:59]
	v_fma_f64 v[4:5], v[26:27], s[0:1], v[56:57]
	v_fma_f64 v[2:3], v[52:53], s[4:5], v[48:49]
	v_fma_f64 v[36:37], v[44:45], 2.0, -v[30:31]
	v_fma_f64 v[38:39], v[14:15], 2.0, -v[32:33]
	v_fma_f64 v[14:15], v[64:65], s[0:1], v[68:69]
	v_fma_f64 v[42:43], v[32:33], s[6:7], v[58:59]
	v_fma_f64 v[78:79], v[20:21], 2.0, -v[70:71]
	v_fma_f64 v[20:21], v[50:51], s[4:5], v[54:55]
	v_fma_f64 v[44:45], v[30:31], s[6:7], v[70:71]
	s_wait_alu 0xfffe
	v_fma_f64 v[80:81], v[22:23], s[10:11], v[62:63]
	v_fma_f64 v[89:90], v[0:1], 2.0, -v[46:47]
	v_fma_f64 v[85:86], v[24:25], s[2:3], v[72:73]
	v_fma_f64 v[82:83], v[34:35], s[2:3], v[66:67]
	;; [unrolled: 1-line block ×3, first 2 shown]
	v_fma_f64 v[93:94], v[28:29], 2.0, -v[40:41]
	v_fma_f64 v[91:92], v[8:9], 2.0, -v[16:17]
	;; [unrolled: 1-line block ×3, first 2 shown]
	v_fma_f64 v[6:7], v[64:65], s[0:1], v[4:5]
	v_fma_f64 v[2:3], v[50:51], s[6:7], v[2:3]
	v_add_f64_e64 v[8:9], v[40:41], -v[16:17]
	v_add_f64_e32 v[10:11], v[46:47], v[10:11]
	v_fma_f64 v[95:96], v[38:39], s[12:13], v[76:77]
	v_fma_f64 v[4:5], v[26:27], s[2:3], v[14:15]
	;; [unrolled: 1-line block ×10, first 2 shown]
	v_add_f64_e64 v[26:27], v[89:90], -v[91:92]
	v_add_f64_e64 v[24:25], v[93:94], -v[28:29]
	v_fma_f64 v[34:35], v[48:49], 2.0, -v[2:3]
	v_fma_f64 v[40:41], v[40:41], 2.0, -v[8:9]
	;; [unrolled: 1-line block ×3, first 2 shown]
	v_fma_f64 v[30:31], v[36:37], s[6:7], v[95:96]
	v_fma_f64 v[36:37], v[68:69], 2.0, -v[4:5]
	v_fma_f64 v[28:29], v[38:39], s[10:11], v[97:98]
	v_fma_f64 v[38:39], v[56:57], 2.0, -v[6:7]
	v_fma_f64 v[32:33], v[54:55], 2.0, -v[0:1]
	;; [unrolled: 1-line block ×12, first 2 shown]
	s_clause 0xf
	global_store_b128 v[60:61], v[36:39], off offset:1248
	global_store_b128 v[60:61], v[32:35], off offset:1456
	;; [unrolled: 1-line block ×12, first 2 shown]
	global_store_b128 v[60:61], v[56:59], off
	global_store_b128 v[60:61], v[62:65], off offset:208
	global_store_b128 v[60:61], v[4:7], off offset:2912
	global_store_b128 v[60:61], v[0:3], off offset:3120
	s_nop 0
	s_sendmsg sendmsg(MSG_DEALLOC_VGPRS)
	s_endpgm
	.section	.rodata,"a",@progbits
	.p2align	6, 0x0
	.amdhsa_kernel fft_rtc_fwd_len208_factors_13_16_wgs_64_tpt_16_halfLds_dp_ip_CI_unitstride_sbrr_dirReg
		.amdhsa_group_segment_fixed_size 0
		.amdhsa_private_segment_fixed_size 0
		.amdhsa_kernarg_size 88
		.amdhsa_user_sgpr_count 2
		.amdhsa_user_sgpr_dispatch_ptr 0
		.amdhsa_user_sgpr_queue_ptr 0
		.amdhsa_user_sgpr_kernarg_segment_ptr 1
		.amdhsa_user_sgpr_dispatch_id 0
		.amdhsa_user_sgpr_private_segment_size 0
		.amdhsa_wavefront_size32 1
		.amdhsa_uses_dynamic_stack 0
		.amdhsa_enable_private_segment 0
		.amdhsa_system_sgpr_workgroup_id_x 1
		.amdhsa_system_sgpr_workgroup_id_y 0
		.amdhsa_system_sgpr_workgroup_id_z 0
		.amdhsa_system_sgpr_workgroup_info 0
		.amdhsa_system_vgpr_workitem_id 0
		.amdhsa_next_free_vgpr 153
		.amdhsa_next_free_sgpr 44
		.amdhsa_reserve_vcc 1
		.amdhsa_float_round_mode_32 0
		.amdhsa_float_round_mode_16_64 0
		.amdhsa_float_denorm_mode_32 3
		.amdhsa_float_denorm_mode_16_64 3
		.amdhsa_fp16_overflow 0
		.amdhsa_workgroup_processor_mode 1
		.amdhsa_memory_ordered 1
		.amdhsa_forward_progress 0
		.amdhsa_round_robin_scheduling 0
		.amdhsa_exception_fp_ieee_invalid_op 0
		.amdhsa_exception_fp_denorm_src 0
		.amdhsa_exception_fp_ieee_div_zero 0
		.amdhsa_exception_fp_ieee_overflow 0
		.amdhsa_exception_fp_ieee_underflow 0
		.amdhsa_exception_fp_ieee_inexact 0
		.amdhsa_exception_int_div_zero 0
	.end_amdhsa_kernel
	.text
.Lfunc_end0:
	.size	fft_rtc_fwd_len208_factors_13_16_wgs_64_tpt_16_halfLds_dp_ip_CI_unitstride_sbrr_dirReg, .Lfunc_end0-fft_rtc_fwd_len208_factors_13_16_wgs_64_tpt_16_halfLds_dp_ip_CI_unitstride_sbrr_dirReg
                                        ; -- End function
	.section	.AMDGPU.csdata,"",@progbits
; Kernel info:
; codeLenInByte = 6840
; NumSgprs: 46
; NumVgprs: 153
; ScratchSize: 0
; MemoryBound: 1
; FloatMode: 240
; IeeeMode: 1
; LDSByteSize: 0 bytes/workgroup (compile time only)
; SGPRBlocks: 5
; VGPRBlocks: 19
; NumSGPRsForWavesPerEU: 46
; NumVGPRsForWavesPerEU: 153
; Occupancy: 9
; WaveLimiterHint : 1
; COMPUTE_PGM_RSRC2:SCRATCH_EN: 0
; COMPUTE_PGM_RSRC2:USER_SGPR: 2
; COMPUTE_PGM_RSRC2:TRAP_HANDLER: 0
; COMPUTE_PGM_RSRC2:TGID_X_EN: 1
; COMPUTE_PGM_RSRC2:TGID_Y_EN: 0
; COMPUTE_PGM_RSRC2:TGID_Z_EN: 0
; COMPUTE_PGM_RSRC2:TIDIG_COMP_CNT: 0
	.text
	.p2alignl 7, 3214868480
	.fill 96, 4, 3214868480
	.type	__hip_cuid_ab733dae55c1fac,@object ; @__hip_cuid_ab733dae55c1fac
	.section	.bss,"aw",@nobits
	.globl	__hip_cuid_ab733dae55c1fac
__hip_cuid_ab733dae55c1fac:
	.byte	0                               ; 0x0
	.size	__hip_cuid_ab733dae55c1fac, 1

	.ident	"AMD clang version 19.0.0git (https://github.com/RadeonOpenCompute/llvm-project roc-6.4.0 25133 c7fe45cf4b819c5991fe208aaa96edf142730f1d)"
	.section	".note.GNU-stack","",@progbits
	.addrsig
	.addrsig_sym __hip_cuid_ab733dae55c1fac
	.amdgpu_metadata
---
amdhsa.kernels:
  - .args:
      - .actual_access:  read_only
        .address_space:  global
        .offset:         0
        .size:           8
        .value_kind:     global_buffer
      - .offset:         8
        .size:           8
        .value_kind:     by_value
      - .actual_access:  read_only
        .address_space:  global
        .offset:         16
        .size:           8
        .value_kind:     global_buffer
      - .actual_access:  read_only
        .address_space:  global
        .offset:         24
        .size:           8
        .value_kind:     global_buffer
      - .offset:         32
        .size:           8
        .value_kind:     by_value
      - .actual_access:  read_only
        .address_space:  global
        .offset:         40
        .size:           8
        .value_kind:     global_buffer
      - .actual_access:  read_only
        .address_space:  global
        .offset:         48
        .size:           8
        .value_kind:     global_buffer
      - .offset:         56
        .size:           4
        .value_kind:     by_value
      - .actual_access:  read_only
        .address_space:  global
        .offset:         64
        .size:           8
        .value_kind:     global_buffer
      - .actual_access:  read_only
        .address_space:  global
        .offset:         72
        .size:           8
        .value_kind:     global_buffer
      - .address_space:  global
        .offset:         80
        .size:           8
        .value_kind:     global_buffer
    .group_segment_fixed_size: 0
    .kernarg_segment_align: 8
    .kernarg_segment_size: 88
    .language:       OpenCL C
    .language_version:
      - 2
      - 0
    .max_flat_workgroup_size: 64
    .name:           fft_rtc_fwd_len208_factors_13_16_wgs_64_tpt_16_halfLds_dp_ip_CI_unitstride_sbrr_dirReg
    .private_segment_fixed_size: 0
    .sgpr_count:     46
    .sgpr_spill_count: 0
    .symbol:         fft_rtc_fwd_len208_factors_13_16_wgs_64_tpt_16_halfLds_dp_ip_CI_unitstride_sbrr_dirReg.kd
    .uniform_work_group_size: 1
    .uses_dynamic_stack: false
    .vgpr_count:     153
    .vgpr_spill_count: 0
    .wavefront_size: 32
    .workgroup_processor_mode: 1
amdhsa.target:   amdgcn-amd-amdhsa--gfx1201
amdhsa.version:
  - 1
  - 2
...

	.end_amdgpu_metadata
